;; amdgpu-corpus repo=ROCm/rocFFT kind=compiled arch=gfx950 opt=O3
	.text
	.amdgcn_target "amdgcn-amd-amdhsa--gfx950"
	.amdhsa_code_object_version 6
	.protected	fft_rtc_back_len198_factors_11_2_9_wgs_110_tpt_22_sp_op_CI_CI_sbrr_dirReg ; -- Begin function fft_rtc_back_len198_factors_11_2_9_wgs_110_tpt_22_sp_op_CI_CI_sbrr_dirReg
	.globl	fft_rtc_back_len198_factors_11_2_9_wgs_110_tpt_22_sp_op_CI_CI_sbrr_dirReg
	.p2align	8
	.type	fft_rtc_back_len198_factors_11_2_9_wgs_110_tpt_22_sp_op_CI_CI_sbrr_dirReg,@function
fft_rtc_back_len198_factors_11_2_9_wgs_110_tpt_22_sp_op_CI_CI_sbrr_dirReg: ; @fft_rtc_back_len198_factors_11_2_9_wgs_110_tpt_22_sp_op_CI_CI_sbrr_dirReg
; %bb.0:
	s_load_dwordx4 s[12:15], s[0:1], 0x18
	s_load_dwordx4 s[8:11], s[0:1], 0x0
	;; [unrolled: 1-line block ×3, first 2 shown]
	v_mul_u32_u24_e32 v1, 0xba3, v0
	v_lshrrev_b32_e32 v2, 16, v1
	s_waitcnt lgkmcnt(0)
	s_load_dwordx2 s[18:19], s[12:13], 0x0
	s_load_dwordx2 s[16:17], s[14:15], 0x0
	v_mad_u64_u32 v[4:5], s[2:3], s2, 5, v[2:3]
	v_mov_b32_e32 v6, 0
	v_mov_b32_e32 v5, v6
	v_cmp_lt_u64_e64 s[2:3], s[10:11], 2
	v_mov_b64_e32 v[2:3], 0
	s_and_b64 vcc, exec, s[2:3]
	v_mov_b64_e32 v[16:17], v[2:3]
	v_mov_b64_e32 v[18:19], v[4:5]
	s_cbranch_vccnz .LBB0_8
; %bb.1:
	s_load_dwordx2 s[2:3], s[0:1], 0x10
	s_add_u32 s20, s14, 8
	s_addc_u32 s21, s15, 0
	s_add_u32 s22, s12, 8
	s_addc_u32 s23, s13, 0
	s_waitcnt lgkmcnt(0)
	s_add_u32 s24, s2, 8
	v_mov_b64_e32 v[2:3], 0
	s_addc_u32 s25, s3, 0
	s_mov_b64 s[26:27], 1
	v_mov_b64_e32 v[16:17], v[2:3]
	v_mov_b64_e32 v[8:9], v[4:5]
.LBB0_2:                                ; =>This Inner Loop Header: Depth=1
	s_load_dwordx2 s[28:29], s[24:25], 0x0
                                        ; implicit-def: $vgpr18_vgpr19
	s_waitcnt lgkmcnt(0)
	v_or_b32_e32 v7, s29, v9
	v_cmp_ne_u64_e32 vcc, 0, v[6:7]
	s_and_saveexec_b64 s[2:3], vcc
	s_xor_b64 s[30:31], exec, s[2:3]
	s_cbranch_execz .LBB0_4
; %bb.3:                                ;   in Loop: Header=BB0_2 Depth=1
	v_cvt_f32_u32_e32 v1, s28
	v_cvt_f32_u32_e32 v5, s29
	s_sub_u32 s2, 0, s28
	s_subb_u32 s3, 0, s29
	v_fmac_f32_e32 v1, 0x4f800000, v5
	v_rcp_f32_e32 v1, v1
	s_nop 0
	v_mul_f32_e32 v1, 0x5f7ffffc, v1
	v_mul_f32_e32 v5, 0x2f800000, v1
	v_trunc_f32_e32 v5, v5
	v_fmac_f32_e32 v1, 0xcf800000, v5
	v_cvt_u32_f32_e32 v5, v5
	v_cvt_u32_f32_e32 v1, v1
	v_mul_lo_u32 v7, s2, v5
	v_mul_hi_u32 v10, s2, v1
	v_mul_lo_u32 v11, s3, v1
	v_add_u32_e32 v7, v10, v7
	v_mul_lo_u32 v14, s2, v1
	v_add_u32_e32 v7, v7, v11
	v_mul_hi_u32 v10, v1, v14
	v_mul_hi_u32 v13, v1, v7
	v_mul_lo_u32 v12, v1, v7
	v_mov_b32_e32 v11, v6
	v_lshl_add_u64 v[10:11], v[10:11], 0, v[12:13]
	v_mul_hi_u32 v13, v5, v14
	v_mul_lo_u32 v14, v5, v14
	v_add_co_u32_e32 v10, vcc, v10, v14
	v_mul_hi_u32 v12, v5, v7
	s_nop 0
	v_addc_co_u32_e32 v10, vcc, v11, v13, vcc
	v_mov_b32_e32 v11, v6
	s_nop 0
	v_addc_co_u32_e32 v13, vcc, 0, v12, vcc
	v_mul_lo_u32 v12, v5, v7
	v_lshl_add_u64 v[10:11], v[10:11], 0, v[12:13]
	v_add_co_u32_e32 v1, vcc, v1, v10
	v_mul_hi_u32 v10, s2, v1
	s_nop 0
	v_addc_co_u32_e32 v5, vcc, v5, v11, vcc
	v_mul_lo_u32 v7, s2, v5
	v_add_u32_e32 v7, v10, v7
	v_mul_lo_u32 v10, s3, v1
	v_add_u32_e32 v7, v7, v10
	v_mul_lo_u32 v12, s2, v1
	v_mul_hi_u32 v15, v5, v12
	v_mul_lo_u32 v18, v5, v12
	v_mul_hi_u32 v11, v1, v7
	v_mul_lo_u32 v10, v1, v7
	v_mul_hi_u32 v12, v1, v12
	v_mov_b32_e32 v13, v6
	v_lshl_add_u64 v[10:11], v[12:13], 0, v[10:11]
	v_add_co_u32_e32 v10, vcc, v10, v18
	v_mul_hi_u32 v14, v5, v7
	s_nop 0
	v_addc_co_u32_e32 v10, vcc, v11, v15, vcc
	v_mul_lo_u32 v12, v5, v7
	s_nop 0
	v_addc_co_u32_e32 v13, vcc, 0, v14, vcc
	v_mov_b32_e32 v11, v6
	v_lshl_add_u64 v[10:11], v[10:11], 0, v[12:13]
	v_add_co_u32_e32 v1, vcc, v1, v10
	v_mul_hi_u32 v12, v8, v1
	s_nop 0
	v_addc_co_u32_e32 v5, vcc, v5, v11, vcc
	v_mad_u64_u32 v[10:11], s[2:3], v8, v5, 0
	v_mov_b32_e32 v13, v6
	v_lshl_add_u64 v[10:11], v[12:13], 0, v[10:11]
	v_mad_u64_u32 v[14:15], s[2:3], v9, v1, 0
	v_add_co_u32_e32 v1, vcc, v10, v14
	v_mad_u64_u32 v[12:13], s[2:3], v9, v5, 0
	s_nop 0
	v_addc_co_u32_e32 v10, vcc, v11, v15, vcc
	v_mov_b32_e32 v11, v6
	s_nop 0
	v_addc_co_u32_e32 v13, vcc, 0, v13, vcc
	v_lshl_add_u64 v[10:11], v[10:11], 0, v[12:13]
	v_mul_lo_u32 v1, s29, v10
	v_mul_lo_u32 v5, s28, v11
	v_mad_u64_u32 v[12:13], s[2:3], s28, v10, 0
	v_add3_u32 v1, v13, v5, v1
	v_sub_u32_e32 v5, v9, v1
	v_mov_b32_e32 v7, s29
	v_sub_co_u32_e32 v18, vcc, v8, v12
	v_lshl_add_u64 v[14:15], v[10:11], 0, 1
	s_nop 0
	v_subb_co_u32_e64 v5, s[2:3], v5, v7, vcc
	v_subrev_co_u32_e64 v7, s[2:3], s28, v18
	v_subb_co_u32_e32 v1, vcc, v9, v1, vcc
	s_nop 0
	v_subbrev_co_u32_e64 v5, s[2:3], 0, v5, s[2:3]
	v_cmp_le_u32_e64 s[2:3], s29, v5
	v_cmp_le_u32_e32 vcc, s29, v1
	s_nop 0
	v_cndmask_b32_e64 v12, 0, -1, s[2:3]
	v_cmp_le_u32_e64 s[2:3], s28, v7
	s_nop 1
	v_cndmask_b32_e64 v7, 0, -1, s[2:3]
	v_cmp_eq_u32_e64 s[2:3], s29, v5
	s_nop 1
	v_cndmask_b32_e64 v5, v12, v7, s[2:3]
	v_lshl_add_u64 v[12:13], v[10:11], 0, 2
	v_cmp_ne_u32_e64 s[2:3], 0, v5
	v_cndmask_b32_e64 v7, 0, -1, vcc
	v_cmp_le_u32_e32 vcc, s28, v18
	v_cndmask_b32_e64 v5, v15, v13, s[2:3]
	s_nop 0
	v_cndmask_b32_e64 v13, 0, -1, vcc
	v_cmp_eq_u32_e32 vcc, s29, v1
	s_nop 1
	v_cndmask_b32_e32 v1, v7, v13, vcc
	v_cmp_ne_u32_e32 vcc, 0, v1
	v_cndmask_b32_e64 v1, v14, v12, s[2:3]
	s_nop 0
	v_cndmask_b32_e32 v19, v11, v5, vcc
	v_cndmask_b32_e32 v18, v10, v1, vcc
.LBB0_4:                                ;   in Loop: Header=BB0_2 Depth=1
	s_andn2_saveexec_b64 s[2:3], s[30:31]
	s_cbranch_execz .LBB0_6
; %bb.5:                                ;   in Loop: Header=BB0_2 Depth=1
	v_cvt_f32_u32_e32 v1, s28
	s_sub_i32 s30, 0, s28
	v_mov_b32_e32 v19, v6
	v_rcp_iflag_f32_e32 v1, v1
	s_nop 0
	v_mul_f32_e32 v1, 0x4f7ffffe, v1
	v_cvt_u32_f32_e32 v1, v1
	v_mul_lo_u32 v5, s30, v1
	v_mul_hi_u32 v5, v1, v5
	v_add_u32_e32 v1, v1, v5
	v_mul_hi_u32 v1, v8, v1
	v_mul_lo_u32 v5, v1, s28
	v_sub_u32_e32 v5, v8, v5
	v_add_u32_e32 v7, 1, v1
	v_subrev_u32_e32 v10, s28, v5
	v_cmp_le_u32_e32 vcc, s28, v5
	s_nop 1
	v_cndmask_b32_e32 v5, v5, v10, vcc
	v_cndmask_b32_e32 v1, v1, v7, vcc
	v_add_u32_e32 v7, 1, v1
	v_cmp_le_u32_e32 vcc, s28, v5
	s_nop 1
	v_cndmask_b32_e32 v18, v1, v7, vcc
.LBB0_6:                                ;   in Loop: Header=BB0_2 Depth=1
	s_or_b64 exec, exec, s[2:3]
	v_mad_u64_u32 v[10:11], s[2:3], v18, s28, 0
	s_load_dwordx2 s[2:3], s[22:23], 0x0
	s_add_u32 s26, s26, 1
	v_mul_lo_u32 v1, v19, s28
	v_mul_lo_u32 v5, v18, s29
	s_load_dwordx2 s[28:29], s[20:21], 0x0
	s_addc_u32 s27, s27, 0
	v_add3_u32 v1, v11, v5, v1
	v_sub_co_u32_e32 v5, vcc, v8, v10
	s_add_u32 s20, s20, 8
	s_nop 0
	v_subb_co_u32_e32 v1, vcc, v9, v1, vcc
	s_addc_u32 s21, s21, 0
	s_waitcnt lgkmcnt(0)
	v_mul_lo_u32 v7, s2, v1
	v_mul_lo_u32 v8, s3, v5
	v_mad_u64_u32 v[2:3], s[2:3], s2, v5, v[2:3]
	s_add_u32 s22, s22, 8
	v_add3_u32 v3, v8, v3, v7
	s_addc_u32 s23, s23, 0
	v_mov_b64_e32 v[8:9], s[10:11]
	v_mul_lo_u32 v1, s28, v1
	v_mul_lo_u32 v7, s29, v5
	v_mad_u64_u32 v[16:17], s[2:3], s28, v5, v[16:17]
	s_add_u32 s24, s24, 8
	v_cmp_ge_u64_e32 vcc, s[26:27], v[8:9]
	v_add3_u32 v17, v7, v17, v1
	s_addc_u32 s25, s25, 0
	s_cbranch_vccnz .LBB0_8
; %bb.7:                                ;   in Loop: Header=BB0_2 Depth=1
	v_mov_b64_e32 v[8:9], v[18:19]
	s_branch .LBB0_2
.LBB0_8:
	s_load_dwordx2 s[0:1], s[0:1], 0x28
	s_lshl_b64 s[20:21], s[10:11], 3
	s_add_u32 s2, s14, s20
	s_addc_u32 s3, s15, s21
	s_load_dwordx2 s[10:11], s[2:3], 0x0
	s_waitcnt lgkmcnt(0)
	v_cmp_gt_u64_e32 vcc, s[0:1], v[18:19]
	s_mov_b32 s0, 0xba2e8bb
	v_mul_hi_u32 v1, v0, s0
	v_mul_u32_u24_e32 v1, 22, v1
	v_mov_b32_e32 v6, 0
	v_sub_u32_e32 v92, v0, v1
	v_mov_b32_e32 v93, 0
	v_mov_b32_e32 v7, v6
                                        ; implicit-def: $vgpr10
                                        ; implicit-def: $vgpr26
                                        ; implicit-def: $vgpr8
                                        ; implicit-def: $vgpr28
                                        ; implicit-def: $vgpr12
                                        ; implicit-def: $vgpr14
                                        ; implicit-def: $vgpr20
                                        ; implicit-def: $vgpr22
                                        ; implicit-def: $vgpr30
                                        ; implicit-def: $vgpr24
	s_and_saveexec_b64 s[2:3], vcc
	s_cbranch_execz .LBB0_12
; %bb.9:
	v_cmp_gt_u32_e64 s[0:1], 18, v92
	v_mov_b32_e32 v7, 0
	v_mov_b32_e32 v6, 0
                                        ; implicit-def: $vgpr25
                                        ; implicit-def: $vgpr31
                                        ; implicit-def: $vgpr23
                                        ; implicit-def: $vgpr21
                                        ; implicit-def: $vgpr15
                                        ; implicit-def: $vgpr13
                                        ; implicit-def: $vgpr29
                                        ; implicit-def: $vgpr9
                                        ; implicit-def: $vgpr27
                                        ; implicit-def: $vgpr11
	s_and_saveexec_b64 s[14:15], s[0:1]
	s_cbranch_execz .LBB0_11
; %bb.10:
	s_add_u32 s0, s12, s20
	s_addc_u32 s1, s13, s21
	s_load_dwordx2 s[0:1], s[0:1], 0x0
	s_waitcnt lgkmcnt(0)
	v_mul_lo_u32 v5, s1, v18
	v_mul_lo_u32 v6, s0, v19
	v_mad_u64_u32 v[0:1], s[0:1], s0, v18, 0
	v_add3_u32 v1, v1, v6, v5
	v_mad_u64_u32 v[6:7], s[0:1], s18, v92, 0
	v_mov_b32_e32 v8, v7
	v_mad_u64_u32 v[8:9], s[0:1], s19, v92, v[8:9]
	v_lshl_add_u64 v[0:1], v[0:1], 3, s[4:5]
	v_mov_b32_e32 v7, v8
	v_lshl_add_u64 v[0:1], v[2:3], 3, v[0:1]
	v_add_u32_e32 v5, 18, v92
	v_lshl_add_u64 v[2:3], v[6:7], 3, v[0:1]
	v_mad_u64_u32 v[6:7], s[0:1], s18, v5, 0
	v_mov_b32_e32 v8, v7
	v_mad_u64_u32 v[8:9], s[0:1], s19, v5, v[8:9]
	v_mov_b32_e32 v7, v8
	v_add_u32_e32 v5, 36, v92
	v_lshl_add_u64 v[26:27], v[6:7], 3, v[0:1]
	v_mad_u64_u32 v[6:7], s[0:1], s18, v5, 0
	v_mov_b32_e32 v8, v7
	v_mad_u64_u32 v[8:9], s[0:1], s19, v5, v[8:9]
	v_mov_b32_e32 v7, v8
	v_add_u32_e32 v5, 54, v92
	v_lshl_add_u64 v[28:29], v[6:7], 3, v[0:1]
	v_mad_u64_u32 v[6:7], s[0:1], s18, v5, 0
	v_mov_b32_e32 v8, v7
	v_mad_u64_u32 v[8:9], s[0:1], s19, v5, v[8:9]
	v_mov_b32_e32 v7, v8
	v_add_u32_e32 v5, 0x48, v92
	v_lshl_add_u64 v[30:31], v[6:7], 3, v[0:1]
	v_mad_u64_u32 v[6:7], s[0:1], s18, v5, 0
	v_mov_b32_e32 v8, v7
	v_mad_u64_u32 v[8:9], s[0:1], s19, v5, v[8:9]
	v_mov_b32_e32 v7, v8
	v_add_u32_e32 v5, 0x5a, v92
	v_lshl_add_u64 v[32:33], v[6:7], 3, v[0:1]
	v_mad_u64_u32 v[6:7], s[0:1], s18, v5, 0
	v_mov_b32_e32 v8, v7
	v_mad_u64_u32 v[8:9], s[0:1], s19, v5, v[8:9]
	v_mov_b32_e32 v7, v8
	v_add_u32_e32 v5, 0x6c, v92
	v_lshl_add_u64 v[34:35], v[6:7], 3, v[0:1]
	v_mad_u64_u32 v[6:7], s[0:1], s18, v5, 0
	v_mov_b32_e32 v8, v7
	v_mad_u64_u32 v[8:9], s[0:1], s19, v5, v[8:9]
	v_mov_b32_e32 v7, v8
	v_add_u32_e32 v5, 0x7e, v92
	v_lshl_add_u64 v[36:37], v[6:7], 3, v[0:1]
	v_mad_u64_u32 v[6:7], s[0:1], s18, v5, 0
	v_mov_b32_e32 v8, v7
	v_mad_u64_u32 v[8:9], s[0:1], s19, v5, v[8:9]
	v_mov_b32_e32 v7, v8
	v_add_u32_e32 v5, 0x90, v92
	v_lshl_add_u64 v[38:39], v[6:7], 3, v[0:1]
	v_mad_u64_u32 v[6:7], s[0:1], s18, v5, 0
	v_mov_b32_e32 v8, v7
	v_mad_u64_u32 v[8:9], s[0:1], s19, v5, v[8:9]
	v_mov_b32_e32 v7, v8
	v_add_u32_e32 v5, 0xa2, v92
	v_lshl_add_u64 v[40:41], v[6:7], 3, v[0:1]
	global_load_dwordx2 v[8:9], v[28:29], off
	global_load_dwordx2 v[10:11], v[30:31], off
	;; [unrolled: 1-line block ×8, first 2 shown]
	v_mad_u64_u32 v[2:3], s[0:1], s18, v5, 0
	v_mov_b32_e32 v26, v3
	v_mad_u64_u32 v[26:27], s[0:1], s19, v5, v[26:27]
	v_add_u32_e32 v5, 0xb4, v92
	v_mov_b32_e32 v3, v26
	v_mad_u64_u32 v[26:27], s[0:1], s18, v5, 0
	v_mov_b32_e32 v28, v27
	v_mad_u64_u32 v[28:29], s[0:1], s19, v5, v[28:29]
	v_mov_b32_e32 v27, v28
	v_lshl_add_u64 v[2:3], v[2:3], 3, v[0:1]
	v_lshl_add_u64 v[0:1], v[26:27], 3, v[0:1]
	global_load_dwordx2 v[26:27], v[40:41], off
	global_load_dwordx2 v[28:29], v[2:3], off
	;; [unrolled: 1-line block ×3, first 2 shown]
.LBB0_11:
	s_or_b64 exec, exec, s[14:15]
	v_mov_b32_e32 v93, v92
.LBB0_12:
	s_or_b64 exec, exec, s[2:3]
	s_waitcnt vmcnt(0)
	v_pk_add_f32 v[46:47], v[24:25], v[30:31] neg_lo:[0,1] neg_hi:[0,1]
	s_mov_b32 s36, 0xbf68dda4
	v_pk_add_f32 v[44:45], v[24:25], v[30:31]
	v_pk_add_f32 v[42:43], v[8:9], v[28:29] neg_lo:[0,1] neg_hi:[0,1]
	s_mov_b32 s2, 0x3ed4b147
	v_pk_mul_f32 v[0:1], v[46:47], s[36:37] op_sel_hi:[1,0]
	s_mov_b32 s12, 0xbf4178ce
	v_pk_add_f32 v[40:41], v[8:9], v[28:29]
	v_pk_fma_f32 v[54:55], v[44:45], s[2:3], v[0:1] op_sel:[0,0,1] op_sel_hi:[1,0,0] neg_lo:[0,0,1] neg_hi:[0,0,1]
	v_pk_fma_f32 v[52:53], v[44:45], s[2:3], v[0:1] op_sel:[0,0,1] op_sel_hi:[1,0,0]
	s_mov_b32 s4, 0xbf27a4f4
	v_pk_mul_f32 v[2:3], v[42:43], s[12:13] op_sel_hi:[1,0]
	v_mov_b32_e32 v0, v54
	v_mov_b32_e32 v1, v53
	v_pk_fma_f32 v[58:59], v[40:41], s[4:5], v[2:3] op_sel:[0,0,1] op_sel_hi:[1,0,0] neg_lo:[0,0,1] neg_hi:[0,0,1]
	v_pk_fma_f32 v[56:57], v[40:41], s[4:5], v[2:3] op_sel:[0,0,1] op_sel_hi:[1,0,0]
	v_pk_add_f32 v[38:39], v[10:11], v[26:27] neg_lo:[0,1] neg_hi:[0,1]
	v_pk_add_f32 v[0:1], v[6:7], v[0:1]
	v_mov_b32_e32 v2, v58
	v_mov_b32_e32 v3, v57
	s_mov_b32 s0, 0x3e903f40
	v_pk_add_f32 v[36:37], v[10:11], v[26:27]
	v_pk_add_f32 v[0:1], v[0:1], v[2:3]
	s_mov_b32 s20, 0xbf75a155
	v_pk_mul_f32 v[2:3], v[38:39], s[0:1] op_sel_hi:[1,0]
	v_pk_add_f32 v[34:35], v[12:13], v[14:15] neg_lo:[0,1] neg_hi:[0,1]
	v_pk_fma_f32 v[60:61], v[36:37], s[20:21], v[2:3] op_sel:[0,0,1] op_sel_hi:[1,0,0] neg_lo:[0,0,1] neg_hi:[0,0,1]
	v_pk_fma_f32 v[62:63], v[36:37], s[20:21], v[2:3] op_sel:[0,0,1] op_sel_hi:[1,0,0]
	v_mov_b32_e32 v2, v60
	v_mov_b32_e32 v3, v63
	s_mov_b32 s26, 0x3f7d64f0
	v_pk_add_f32 v[32:33], v[12:13], v[14:15]
	v_pk_add_f32 v[0:1], v[2:3], v[0:1]
	s_mov_b32 s18, 0xbe11bafb
	v_pk_mul_f32 v[2:3], v[34:35], s[26:27] op_sel_hi:[1,0]
	s_mov_b32 s22, 0xbf7d64f0
	v_pk_fma_f32 v[64:65], v[32:33], s[18:19], v[2:3] op_sel:[0,0,1] op_sel_hi:[1,0,0] neg_lo:[0,0,1] neg_hi:[0,0,1]
	v_pk_fma_f32 v[66:67], v[32:33], s[18:19], v[2:3] op_sel:[0,0,1] op_sel_hi:[1,0,0]
	v_mov_b32_e32 v2, v64
	v_mov_b32_e32 v3, v67
	v_pk_add_f32 v[0:1], v[0:1], v[2:3]
	v_pk_mul_f32 v[2:3], v[46:47], s[22:23] op_sel_hi:[1,0]
	v_pk_mul_f32 v[48:49], v[42:43], s[0:1] op_sel_hi:[1,0]
	v_pk_fma_f32 v[68:69], v[44:45], s[18:19], v[2:3] op_sel:[0,0,1] op_sel_hi:[1,0,0] neg_lo:[0,0,1] neg_hi:[0,0,1]
	v_pk_fma_f32 v[70:71], v[44:45], s[18:19], v[2:3] op_sel:[0,0,1] op_sel_hi:[1,0,0]
	v_mov_b32_e32 v2, v68
	v_mov_b32_e32 v3, v71
	v_pk_fma_f32 v[72:73], v[40:41], s[20:21], v[48:49] op_sel:[0,0,1] op_sel_hi:[1,0,0] neg_lo:[0,0,1] neg_hi:[0,0,1]
	v_pk_fma_f32 v[74:75], v[40:41], s[20:21], v[48:49] op_sel:[0,0,1] op_sel_hi:[1,0,0]
	v_pk_add_f32 v[2:3], v[6:7], v[2:3]
	v_mov_b32_e32 v48, v72
	v_mov_b32_e32 v49, v75
	s_mov_b32 s24, 0x3f68dda4
	v_pk_add_f32 v[2:3], v[2:3], v[48:49]
	v_pk_mul_f32 v[48:49], v[38:39], s[24:25] op_sel_hi:[1,0]
	s_mov_b32 s34, 0xbf0a6770
	v_pk_fma_f32 v[76:77], v[36:37], s[2:3], v[48:49] op_sel:[0,0,1] op_sel_hi:[1,0,0] neg_lo:[0,0,1] neg_hi:[0,0,1]
	v_pk_fma_f32 v[78:79], v[36:37], s[2:3], v[48:49] op_sel:[0,0,1] op_sel_hi:[1,0,0]
	v_mov_b32_e32 v48, v76
	v_mov_b32_e32 v49, v79
	v_pk_add_f32 v[2:3], v[48:49], v[2:3]
	s_mov_b32 s28, 0x3f575c64
	v_pk_mul_f32 v[48:49], v[34:35], s[34:35] op_sel_hi:[1,0]
	s_mov_b32 s30, 0x3f0a6770
	v_pk_fma_f32 v[80:81], v[32:33], s[28:29], v[48:49] op_sel:[0,0,1] op_sel_hi:[1,0,0] neg_lo:[0,0,1] neg_hi:[0,0,1]
	v_pk_fma_f32 v[82:83], v[32:33], s[28:29], v[48:49] op_sel:[0,0,1] op_sel_hi:[1,0,0]
	v_mov_b32_e32 v48, v80
	v_mov_b32_e32 v49, v83
	v_pk_add_f32 v[50:51], v[20:21], v[22:23] neg_lo:[0,1] neg_hi:[0,1]
	v_pk_add_f32 v[94:95], v[2:3], v[48:49]
	v_pk_add_f32 v[48:49], v[20:21], v[22:23]
	v_pk_mul_f32 v[2:3], v[50:51], s[30:31] op_sel_hi:[1,0]
	s_mov_b32 s0, 0xcccccccd
	v_pk_fma_f32 v[88:89], v[48:49], s[28:29], v[2:3] op_sel:[0,0,1] op_sel_hi:[1,0,0] neg_lo:[0,0,1] neg_hi:[0,0,1]
	v_pk_fma_f32 v[90:91], v[48:49], s[28:29], v[2:3] op_sel:[0,0,1] op_sel_hi:[1,0,0]
	v_mul_hi_u32 v5, v4, s0
	v_mov_b32_e32 v2, v88
	v_mov_b32_e32 v3, v91
	v_lshrrev_b32_e32 v5, 2, v5
	v_pk_add_f32 v[2:3], v[0:1], v[2:3]
	v_pk_mul_f32 v[0:1], v[50:51], s[12:13] op_sel_hi:[1,0]
	v_lshl_add_u32 v5, v5, 2, v5
	v_pk_fma_f32 v[84:85], v[48:49], s[4:5], v[0:1] op_sel:[0,0,1] op_sel_hi:[1,0,0] neg_lo:[0,0,1] neg_hi:[0,0,1]
	v_pk_fma_f32 v[86:87], v[48:49], s[4:5], v[0:1] op_sel:[0,0,1] op_sel_hi:[1,0,0]
	v_sub_u32_e32 v4, v4, v5
	v_mov_b32_e32 v0, v84
	v_mov_b32_e32 v1, v87
	v_mul_u32_u24_e32 v4, 0xc6, v4
	v_pk_add_f32 v[0:1], v[94:95], v[0:1]
	v_cmp_gt_u32_e64 s[0:1], 18, v92
	v_lshlrev_b32_e32 v54, 3, v4
	s_and_saveexec_b64 s[14:15], s[0:1]
	s_cbranch_execz .LBB0_14
; %bb.13:
	v_pk_add_f32 v[4:5], v[6:7], v[24:25]
	s_mov_b32 s0, 0xbe903f40
	v_pk_add_f32 v[4:5], v[4:5], v[8:9]
	v_pk_mul_f32 v[8:9], v[46:47], s[34:35] op_sel_hi:[1,0]
	v_pk_add_f32 v[4:5], v[4:5], v[10:11]
	v_pk_fma_f32 v[10:11], v[44:45], s[28:29], v[8:9] op_sel:[0,0,1] op_sel_hi:[1,0,0]
	v_pk_add_f32 v[4:5], v[4:5], v[12:13]
	v_pk_fma_f32 v[8:9], v[44:45], s[28:29], v[8:9] op_sel:[0,0,1] op_sel_hi:[1,0,0] neg_lo:[0,0,1] neg_hi:[0,0,1]
	v_pk_add_f32 v[4:5], v[4:5], v[20:21]
	v_mov_b32_e32 v12, v10
	v_pk_add_f32 v[4:5], v[4:5], v[22:23]
	v_mov_b32_e32 v13, v9
	v_pk_add_f32 v[4:5], v[14:15], v[4:5]
	v_pk_mul_f32 v[14:15], v[42:43], s[36:37] op_sel_hi:[1,0]
	v_pk_add_f32 v[12:13], v[6:7], v[12:13]
	v_pk_fma_f32 v[20:21], v[40:41], s[2:3], v[14:15] op_sel:[0,0,1] op_sel_hi:[1,0,0]
	v_pk_fma_f32 v[14:15], v[40:41], s[2:3], v[14:15] op_sel:[0,0,1] op_sel_hi:[1,0,0] neg_lo:[0,0,1] neg_hi:[0,0,1]
	v_mov_b32_e32 v22, v20
	v_mov_b32_e32 v23, v15
	v_pk_add_f32 v[12:13], v[12:13], v[22:23]
	v_pk_mul_f32 v[22:23], v[38:39], s[22:23] op_sel_hi:[1,0]
	v_pk_add_f32 v[4:5], v[26:27], v[4:5]
	v_pk_fma_f32 v[24:25], v[36:37], s[18:19], v[22:23] op_sel:[0,0,1] op_sel_hi:[1,0,0]
	v_pk_fma_f32 v[22:23], v[36:37], s[18:19], v[22:23] op_sel:[0,0,1] op_sel_hi:[1,0,0] neg_lo:[0,0,1] neg_hi:[0,0,1]
	v_mov_b32_e32 v26, v24
	v_mov_b32_e32 v27, v23
	v_pk_add_f32 v[12:13], v[26:27], v[12:13]
	v_pk_mul_f32 v[26:27], v[34:35], s[12:13] op_sel_hi:[1,0]
	v_pk_add_f32 v[4:5], v[28:29], v[4:5]
	v_pk_fma_f32 v[28:29], v[32:33], s[4:5], v[26:27] op_sel:[0,0,1] op_sel_hi:[1,0,0]
	v_pk_fma_f32 v[26:27], v[32:33], s[4:5], v[26:27] op_sel:[0,0,1] op_sel_hi:[1,0,0] neg_lo:[0,0,1] neg_hi:[0,0,1]
	v_pk_add_f32 v[4:5], v[30:31], v[4:5]
	v_mov_b32_e32 v30, v28
	v_mov_b32_e32 v31, v27
	v_pk_add_f32 v[12:13], v[12:13], v[30:31]
	v_pk_mul_f32 v[30:31], v[50:51], s[0:1] op_sel_hi:[1,0]
	v_mul_u32_u24_e32 v9, 0x58, v92
	v_pk_fma_f32 v[94:95], v[48:49], s[20:21], v[30:31] op_sel:[0,0,1] op_sel_hi:[1,0,0]
	v_pk_fma_f32 v[30:31], v[48:49], s[20:21], v[30:31] op_sel:[0,0,1] op_sel_hi:[1,0,0] neg_lo:[0,0,1] neg_hi:[0,0,1]
	v_mov_b32_e32 v96, v94
	v_mov_b32_e32 v97, v31
	v_pk_add_f32 v[12:13], v[12:13], v[96:97]
	v_add3_u32 v10, 0, v9, v54
	v_mov_b32_e32 v53, v55
	v_mov_b32_e32 v71, v69
	ds_write2_b64 v10, v[4:5], v[12:13] offset1:1
	v_mov_b32_e32 v57, v59
	v_pk_add_f32 v[4:5], v[6:7], v[52:53]
	v_pk_add_f32 v[12:13], v[6:7], v[70:71]
	v_mov_b32_e32 v75, v73
	v_pk_add_f32 v[4:5], v[4:5], v[56:57]
	v_mov_b32_e32 v63, v61
	;; [unrolled: 2-line block ×7, first 2 shown]
	v_pk_add_f32 v[4:5], v[4:5], v[90:91]
	v_pk_add_f32 v[12:13], v[12:13], v[86:87]
	ds_write2_b64 v10, v[4:5], v[12:13] offset0:2 offset1:3
	v_pk_mul_f32 v[4:5], v[46:47], s[12:13] op_sel_hi:[1,0]
	v_pk_mul_f32 v[56:57], v[42:43], s[26:27] op_sel_hi:[1,0]
	v_pk_fma_f32 v[12:13], v[44:45], s[4:5], v[4:5] op_sel:[0,0,1] op_sel_hi:[1,0,0]
	v_pk_fma_f32 v[4:5], v[44:45], s[4:5], v[4:5] op_sel:[0,0,1] op_sel_hi:[1,0,0] neg_lo:[0,0,1] neg_hi:[0,0,1]
	v_mov_b32_e32 v52, v12
	v_mov_b32_e32 v53, v5
	v_pk_fma_f32 v[58:59], v[40:41], s[18:19], v[56:57] op_sel:[0,0,1] op_sel_hi:[1,0,0]
	v_pk_fma_f32 v[56:57], v[40:41], s[18:19], v[56:57] op_sel:[0,0,1] op_sel_hi:[1,0,0] neg_lo:[0,0,1] neg_hi:[0,0,1]
	v_pk_add_f32 v[52:53], v[6:7], v[52:53]
	v_mov_b32_e32 v60, v58
	v_mov_b32_e32 v61, v57
	v_pk_add_f32 v[52:53], v[52:53], v[60:61]
	v_pk_mul_f32 v[60:61], v[38:39], s[34:35] op_sel_hi:[1,0]
	v_pk_mul_f32 v[46:47], v[46:47], s[0:1] op_sel_hi:[1,0]
	v_pk_fma_f32 v[62:63], v[36:37], s[28:29], v[60:61] op_sel:[0,0,1] op_sel_hi:[1,0,0]
	v_pk_fma_f32 v[60:61], v[36:37], s[28:29], v[60:61] op_sel:[0,0,1] op_sel_hi:[1,0,0] neg_lo:[0,0,1] neg_hi:[0,0,1]
	v_mov_b32_e32 v64, v62
	v_mov_b32_e32 v65, v61
	v_pk_add_f32 v[52:53], v[64:65], v[52:53]
	v_pk_mul_f32 v[64:65], v[34:35], s[0:1] op_sel_hi:[1,0]
	v_pk_mul_f32 v[42:43], v[42:43], s[30:31] op_sel_hi:[1,0]
	v_pk_fma_f32 v[66:67], v[32:33], s[20:21], v[64:65] op_sel:[0,0,1] op_sel_hi:[1,0,0]
	v_pk_fma_f32 v[64:65], v[32:33], s[20:21], v[64:65] op_sel:[0,0,1] op_sel_hi:[1,0,0] neg_lo:[0,0,1] neg_hi:[0,0,1]
	v_mov_b32_e32 v68, v66
	v_mov_b32_e32 v69, v65
	v_pk_add_f32 v[52:53], v[52:53], v[68:69]
	v_pk_mul_f32 v[68:69], v[50:51], s[24:25] op_sel_hi:[1,0]
	v_pk_fma_f32 v[74:75], v[40:41], s[28:29], v[42:43] op_sel:[0,0,1] op_sel_hi:[1,0,0]
	v_pk_fma_f32 v[70:71], v[48:49], s[2:3], v[68:69] op_sel:[0,0,1] op_sel_hi:[1,0,0]
	v_pk_fma_f32 v[68:69], v[48:49], s[2:3], v[68:69] op_sel:[0,0,1] op_sel_hi:[1,0,0] neg_lo:[0,0,1] neg_hi:[0,0,1]
	v_mov_b32_e32 v72, v70
	v_mov_b32_e32 v73, v69
	v_pk_add_f32 v[52:53], v[52:53], v[72:73]
	v_pk_fma_f32 v[72:73], v[44:45], s[20:21], v[46:47] op_sel:[0,0,1] op_sel_hi:[1,0,0]
	v_pk_fma_f32 v[44:45], v[44:45], s[20:21], v[46:47] op_sel:[0,0,1] op_sel_hi:[1,0,0] neg_lo:[0,0,1] neg_hi:[0,0,1]
	v_mov_b32_e32 v46, v72
	v_mov_b32_e32 v47, v45
	v_pk_fma_f32 v[40:41], v[40:41], s[28:29], v[42:43] op_sel:[0,0,1] op_sel_hi:[1,0,0] neg_lo:[0,0,1] neg_hi:[0,0,1]
	v_pk_add_f32 v[46:47], v[6:7], v[46:47]
	v_mov_b32_e32 v42, v74
	v_mov_b32_e32 v43, v41
	v_pk_mul_f32 v[38:39], v[38:39], s[12:13] op_sel_hi:[1,0]
	v_pk_add_f32 v[42:43], v[46:47], v[42:43]
	v_pk_fma_f32 v[46:47], v[36:37], s[4:5], v[38:39] op_sel:[0,0,1] op_sel_hi:[1,0,0]
	v_pk_fma_f32 v[36:37], v[36:37], s[4:5], v[38:39] op_sel:[0,0,1] op_sel_hi:[1,0,0] neg_lo:[0,0,1] neg_hi:[0,0,1]
	v_mov_b32_e32 v38, v46
	v_mov_b32_e32 v39, v37
	v_pk_mul_f32 v[34:35], v[34:35], s[24:25] op_sel_hi:[1,0]
	v_pk_add_f32 v[38:39], v[38:39], v[42:43]
	v_pk_fma_f32 v[42:43], v[32:33], s[2:3], v[34:35] op_sel:[0,0,1] op_sel_hi:[1,0,0]
	v_pk_fma_f32 v[32:33], v[32:33], s[2:3], v[34:35] op_sel:[0,0,1] op_sel_hi:[1,0,0] neg_lo:[0,0,1] neg_hi:[0,0,1]
	v_mov_b32_e32 v34, v42
	v_mov_b32_e32 v35, v33
	v_pk_add_f32 v[34:35], v[38:39], v[34:35]
	v_pk_mul_f32 v[38:39], v[50:51], s[22:23] op_sel_hi:[1,0]
	v_mov_b32_e32 v45, v73
	v_pk_fma_f32 v[50:51], v[48:49], s[18:19], v[38:39] op_sel:[0,0,1] op_sel_hi:[1,0,0]
	v_pk_fma_f32 v[38:39], v[48:49], s[18:19], v[38:39] op_sel:[0,0,1] op_sel_hi:[1,0,0] neg_lo:[0,0,1] neg_hi:[0,0,1]
	v_mov_b32_e32 v48, v50
	v_mov_b32_e32 v49, v39
	v_pk_add_f32 v[34:35], v[34:35], v[48:49]
	v_mov_b32_e32 v5, v13
	ds_write2_b64 v10, v[52:53], v[34:35] offset0:4 offset1:5
	v_pk_add_f32 v[34:35], v[6:7], v[44:45]
	v_mov_b32_e32 v41, v75
	v_pk_add_f32 v[4:5], v[6:7], v[4:5]
	v_mov_b32_e32 v57, v59
	;; [unrolled: 2-line block ×8, first 2 shown]
	v_pk_add_f32 v[32:33], v[32:33], v[38:39]
	v_pk_add_f32 v[4:5], v[4:5], v[68:69]
	v_mov_b32_e32 v9, v11
	ds_write2_b64 v10, v[32:33], v[4:5] offset0:6 offset1:7
	ds_write2_b64 v10, v[0:1], v[2:3] offset0:8 offset1:9
	v_pk_add_f32 v[4:5], v[6:7], v[8:9]
	v_mov_b32_e32 v15, v21
	v_pk_add_f32 v[4:5], v[4:5], v[14:15]
	v_mov_b32_e32 v23, v25
	v_pk_add_f32 v[4:5], v[22:23], v[4:5]
	v_mov_b32_e32 v27, v29
	v_pk_add_f32 v[4:5], v[4:5], v[26:27]
	v_mov_b32_e32 v31, v95
	v_pk_add_f32 v[4:5], v[4:5], v[30:31]
	ds_write_b64 v10, v[4:5] offset:80
.LBB0_14:
	s_or_b64 exec, exec, s[14:15]
	v_lshlrev_b32_e32 v20, 3, v92
	v_add3_u32 v26, 0, v20, v54
	s_waitcnt lgkmcnt(0)
	s_barrier
	v_add3_u32 v27, 0, v54, v20
	ds_read2_b64 v[8:11], v26 offset0:66 offset1:99
	ds_read2_b64 v[4:7], v26 offset0:22 offset1:44
	;; [unrolled: 1-line block ×3, first 2 shown]
	ds_read_b64 v[22:23], v27
	ds_read_b64 v[24:25], v26 offset:1320
	v_cmp_gt_u32_e64 s[0:1], 11, v92
	s_and_saveexec_b64 s[2:3], s[0:1]
	s_cbranch_execz .LBB0_16
; %bb.15:
	ds_read2_b64 v[0:3], v26 offset0:88 offset1:187
.LBB0_16:
	s_or_b64 exec, exec, s[2:3]
	v_add_u32_e32 v21, -11, v92
	v_cndmask_b32_e64 v28, v21, v92, s[0:1]
	v_mov_b32_e32 v29, 0
	v_add_u16_e32 v21, 22, v92
	s_movk_i32 s4, 0x75
	v_lshl_add_u64 v[30:31], v[28:29], 3, s[8:9]
	v_mul_lo_u16_sdwa v29, v21, s4 dst_sel:DWORD dst_unused:UNUSED_PAD src0_sel:BYTE_0 src1_sel:DWORD
	v_sub_u16_sdwa v32, v21, v29 dst_sel:DWORD dst_unused:UNUSED_PAD src0_sel:DWORD src1_sel:BYTE_1
	v_lshrrev_b16_e32 v32, 1, v32
	v_and_b32_e32 v32, 0x7f, v32
	v_add_u16_sdwa v29, v32, v29 dst_sel:DWORD dst_unused:UNUSED_PAD src0_sel:DWORD src1_sel:BYTE_1
	v_lshrrev_b16_e32 v29, 3, v29
	v_mul_lo_u16_e32 v32, 11, v29
	v_sub_u16_e32 v32, v21, v32
	v_add_u16_e32 v21, 44, v92
	v_mul_lo_u16_sdwa v33, v21, s4 dst_sel:DWORD dst_unused:UNUSED_PAD src0_sel:BYTE_0 src1_sel:DWORD
	v_sub_u16_sdwa v34, v21, v33 dst_sel:DWORD dst_unused:UNUSED_PAD src0_sel:DWORD src1_sel:BYTE_1
	v_lshrrev_b16_e32 v34, 1, v34
	v_and_b32_e32 v34, 0x7f, v34
	v_add_u16_sdwa v33, v34, v33 dst_sel:DWORD dst_unused:UNUSED_PAD src0_sel:DWORD src1_sel:BYTE_1
	v_lshrrev_b16_e32 v40, 3, v33
	v_mul_lo_u16_e32 v33, 11, v40
	v_sub_u16_e32 v33, v21, v33
	v_add_u16_e32 v21, 0x42, v92
	v_mul_lo_u16_sdwa v34, v21, s4 dst_sel:DWORD dst_unused:UNUSED_PAD src0_sel:BYTE_0 src1_sel:DWORD
	v_sub_u16_sdwa v35, v21, v34 dst_sel:DWORD dst_unused:UNUSED_PAD src0_sel:DWORD src1_sel:BYTE_1
	v_lshrrev_b16_e32 v35, 1, v35
	v_and_b32_e32 v35, 0x7f, v35
	v_add_u16_sdwa v34, v35, v34 dst_sel:DWORD dst_unused:UNUSED_PAD src0_sel:DWORD src1_sel:BYTE_1
	v_lshrrev_b16_e32 v41, 3, v34
	v_mul_lo_u16_e32 v34, 11, v41
	v_sub_u16_e32 v34, v21, v34
	v_mov_b32_e32 v21, 3
	v_lshlrev_b32_sdwa v44, v21, v34 dst_sel:DWORD dst_unused:UNUSED_PAD src0_sel:DWORD src1_sel:BYTE_0
	v_lshlrev_b32_sdwa v42, v21, v32 dst_sel:DWORD dst_unused:UNUSED_PAD src0_sel:DWORD src1_sel:BYTE_0
	;; [unrolled: 1-line block ×3, first 2 shown]
	global_load_dwordx2 v[32:33], v44, s[8:9]
	global_load_dwordx2 v[34:35], v43, s[8:9]
	;; [unrolled: 1-line block ×3, first 2 shown]
	global_load_dwordx2 v[38:39], v[30:31], off
	v_mov_b32_e32 v30, 0xb0
	v_cmp_lt_u32_e64 s[2:3], 10, v92
	s_movk_i32 s5, 0xb0
	v_lshlrev_b32_e32 v28, 3, v28
	v_cndmask_b32_e64 v30, 0, v30, s[2:3]
	v_add_u32_e32 v30, 0, v30
	v_add3_u32 v46, v30, v28, v54
	v_mad_u32_u24 v28, v29, s5, 0
	v_mad_u32_u24 v29, v40, s5, 0
	;; [unrolled: 1-line block ×3, first 2 shown]
	v_add3_u32 v47, v28, v42, v54
	v_add3_u32 v48, v29, v43, v54
	;; [unrolled: 1-line block ×3, first 2 shown]
	s_waitcnt lgkmcnt(0)
	s_barrier
	s_waitcnt vmcnt(3)
	v_pk_mul_f32 v[28:29], v[32:33], v[24:25] op_sel:[0,1]
	s_waitcnt vmcnt(2)
	v_pk_mul_f32 v[30:31], v[34:35], v[14:15] op_sel:[0,1]
	;; [unrolled: 2-line block ×4, first 2 shown]
	v_pk_fma_f32 v[44:45], v[32:33], v[24:25], v[28:29] op_sel:[0,0,1] op_sel_hi:[1,1,0]
	v_pk_fma_f32 v[24:25], v[32:33], v[24:25], v[28:29] op_sel:[0,0,1] op_sel_hi:[1,0,0] neg_lo:[1,0,0] neg_hi:[1,0,0]
	v_pk_fma_f32 v[32:33], v[38:39], v[10:11], v[42:43] op_sel:[0,0,1] op_sel_hi:[1,1,0]
	v_pk_fma_f32 v[10:11], v[38:39], v[10:11], v[42:43] op_sel:[0,0,1] op_sel_hi:[1,0,0] neg_lo:[1,0,0] neg_hi:[1,0,0]
	;; [unrolled: 2-line block ×4, first 2 shown]
	v_mov_b32_e32 v33, v11
	v_mov_b32_e32 v45, v25
	v_mov_b32_e32 v29, v15
	v_mov_b32_e32 v31, v13
	v_pk_add_f32 v[24:25], v[22:23], v[32:33] neg_lo:[0,1] neg_hi:[0,1]
	v_pk_add_f32 v[10:11], v[8:9], v[44:45] neg_lo:[0,1] neg_hi:[0,1]
	;; [unrolled: 1-line block ×4, first 2 shown]
	v_pk_fma_f32 v[22:23], v[22:23], 2.0, v[24:25] op_sel_hi:[1,0,1] neg_lo:[0,0,1] neg_hi:[0,0,1]
	v_pk_fma_f32 v[8:9], v[8:9], 2.0, v[10:11] op_sel_hi:[1,0,1] neg_lo:[0,0,1] neg_hi:[0,0,1]
	;; [unrolled: 1-line block ×4, first 2 shown]
	ds_write2_b64 v46, v[22:23], v[24:25] offset1:11
	ds_write2_b64 v47, v[4:5], v[14:15] offset1:11
	;; [unrolled: 1-line block ×4, first 2 shown]
	s_and_saveexec_b64 s[2:3], s[0:1]
	s_cbranch_execz .LBB0_18
; %bb.17:
	v_add_u16_e32 v4, 0x58, v92
	v_mul_lo_u16_sdwa v5, v4, s4 dst_sel:DWORD dst_unused:UNUSED_PAD src0_sel:BYTE_0 src1_sel:DWORD
	v_sub_u16_sdwa v6, v4, v5 dst_sel:DWORD dst_unused:UNUSED_PAD src0_sel:DWORD src1_sel:BYTE_1
	v_lshrrev_b16_e32 v6, 1, v6
	v_and_b32_e32 v6, 0x7f, v6
	v_add_u16_sdwa v5, v6, v5 dst_sel:DWORD dst_unused:UNUSED_PAD src0_sel:DWORD src1_sel:BYTE_1
	v_lshrrev_b16_e32 v5, 3, v5
	v_mul_lo_u16_e32 v5, 11, v5
	v_sub_u16_e32 v4, v4, v5
	v_lshlrev_b32_sdwa v7, v21, v4 dst_sel:DWORD dst_unused:UNUSED_PAD src0_sel:DWORD src1_sel:BYTE_0
	global_load_dwordx2 v[4:5], v7, s[8:9]
	v_mov_b32_e32 v6, v3
	v_add3_u32 v10, 0, v7, v54
	s_waitcnt vmcnt(0)
	v_pk_mul_f32 v[6:7], v[6:7], v[4:5] op_sel_hi:[0,1]
	v_pk_fma_f32 v[8:9], v[2:3], v[4:5], v[6:7] op_sel:[0,0,1] op_sel_hi:[1,1,0]
	v_pk_fma_f32 v[2:3], v[2:3], v[4:5], v[6:7] op_sel:[0,0,1] op_sel_hi:[0,1,0] neg_lo:[1,0,0] neg_hi:[1,0,0]
	v_mov_b32_e32 v9, v3
	v_pk_add_f32 v[2:3], v[0:1], v[8:9] neg_lo:[0,1] neg_hi:[0,1]
	s_nop 0
	v_pk_fma_f32 v[0:1], v[0:1], 2.0, v[2:3] op_sel_hi:[1,0,1] neg_lo:[0,0,1] neg_hi:[0,0,1]
	ds_write2_b64 v10, v[0:1], v[2:3] offset0:176 offset1:187
.LBB0_18:
	s_or_b64 exec, exec, s[2:3]
	s_waitcnt lgkmcnt(0)
	s_barrier
	s_and_saveexec_b64 s[0:1], vcc
	s_cbranch_execz .LBB0_20
; %bb.19:
	v_mov_b32_e32 v21, 0
	v_mul_lo_u32 v0, s11, v18
	v_mul_lo_u32 v1, s10, v19
	v_mad_u64_u32 v[32:33], s[0:1], s10, v18, 0
	v_lshl_add_u64 v[22:23], v[20:21], 3, s[8:9]
	v_add3_u32 v33, v33, v1, v0
	ds_read2_b64 v[0:3], v26 offset0:22 offset1:44
	global_load_dwordx4 v[4:7], v[22:23], off offset:120
	global_load_dwordx4 v[8:11], v[22:23], off offset:136
	;; [unrolled: 1-line block ×4, first 2 shown]
	v_mad_u64_u32 v[34:35], s[0:1], s16, v93, 0
	v_mov_b32_e32 v38, v35
	ds_read2_b64 v[22:25], v26 offset0:66 offset1:88
	ds_read2_b64 v[28:31], v26 offset0:110 offset1:132
	ds_read_b64 v[36:37], v27
	v_mad_u64_u32 v[38:39], s[0:1], s17, v93, v[38:39]
	v_lshl_add_u64 v[32:33], v[32:33], 3, s[6:7]
	v_add_u32_e32 v27, 22, v93
	v_mov_b32_e32 v35, v38
	v_lshl_add_u64 v[16:17], v[16:17], 3, v[32:33]
	v_mad_u64_u32 v[32:33], s[0:1], s16, v27, 0
	v_lshl_add_u64 v[38:39], v[34:35], 3, v[16:17]
	v_mov_b32_e32 v34, v33
	v_mad_u64_u32 v[34:35], s[0:1], s17, v27, v[34:35]
	v_mov_b32_e32 v33, v34
	v_add_u32_e32 v27, 44, v93
	v_lshl_add_u64 v[40:41], v[32:33], 3, v[16:17]
	v_mad_u64_u32 v[32:33], s[0:1], s16, v27, 0
	v_mov_b32_e32 v34, v33
	v_mad_u64_u32 v[34:35], s[0:1], s17, v27, v[34:35]
	v_mov_b32_e32 v33, v34
	v_add_u32_e32 v27, 0x42, v93
	v_lshl_add_u64 v[42:43], v[32:33], 3, v[16:17]
	v_mad_u64_u32 v[32:33], s[0:1], s16, v27, 0
	;; [unrolled: 6-line block ×6, first 2 shown]
	v_mov_b32_e32 v34, v33
	v_mad_u64_u32 v[34:35], s[0:1], s17, v27, v[34:35]
	v_mov_b32_e32 v33, v34
	v_lshl_add_u64 v[52:53], v[32:33], 3, v[16:17]
	ds_read2_b64 v[32:35], v26 offset0:154 offset1:176
	v_add_u32_e32 v27, 0xb0, v93
	v_mad_u64_u32 v[54:55], s[0:1], s16, v27, 0
	v_mov_b32_e32 v56, v55
	v_mad_u64_u32 v[26:27], s[0:1], s17, v27, v[56:57]
	v_mov_b32_e32 v55, v26
	v_lshl_add_u64 v[16:17], v[54:55], 3, v[16:17]
	s_mov_b32 s2, 0x3f248dbb
	s_mov_b32 s3, 0x3f7c1c5c
	s_waitcnt vmcnt(2) lgkmcnt(0)
	v_pk_mul_f32 v[26:27], v[32:33], v[8:9] op_sel:[0,1]
	s_mov_b32 s0, 0x3f5db3d7
	v_pk_fma_f32 v[54:55], v[8:9], v[32:33], v[26:27] op_sel:[0,0,1] op_sel_hi:[1,1,0]
	v_pk_fma_f32 v[8:9], v[8:9], v[32:33], v[26:27] op_sel:[0,0,1] op_sel_hi:[0,1,0] neg_lo:[0,0,1] neg_hi:[0,0,1]
	s_waitcnt vmcnt(0)
	v_pk_mul_f32 v[26:27], v[20:21], v[2:3] op_sel:[0,1]
	v_mov_b32_e32 v55, v9
	v_pk_fma_f32 v[32:33], v[20:21], v[2:3], v[26:27] op_sel:[0,0,1] op_sel_hi:[1,1,0]
	v_pk_fma_f32 v[2:3], v[20:21], v[2:3], v[26:27] op_sel:[0,0,1] op_sel_hi:[1,0,0] neg_lo:[1,0,0] neg_hi:[1,0,0]
	v_mov_b32_e32 v8, v9
	v_mov_b32_e32 v2, v11
	v_pk_mul_f32 v[20:21], v[34:35], v[2:3] op_sel_hi:[1,0]
	v_mov_b32_e32 v33, v3
	v_pk_fma_f32 v[26:27], v[10:11], v[34:35], v[20:21] op_sel:[0,0,1] op_sel_hi:[1,1,0]
	v_pk_fma_f32 v[10:11], v[10:11], v[34:35], v[20:21] op_sel:[0,0,1] op_sel_hi:[0,1,0] neg_lo:[0,0,1] neg_hi:[0,0,1]
	v_pk_mul_f32 v[20:21], v[18:19], v[0:1] op_sel:[0,1]
	v_mov_b32_e32 v2, v3
	v_pk_fma_f32 v[34:35], v[18:19], v[0:1], v[20:21] op_sel:[0,0,1] op_sel_hi:[1,1,0]
	v_pk_fma_f32 v[0:1], v[18:19], v[0:1], v[20:21] op_sel:[0,0,1] op_sel_hi:[1,0,0] neg_lo:[1,0,0] neg_hi:[1,0,0]
	v_mov_b32_e32 v3, v34
	v_mov_b32_e32 v9, v26
	;; [unrolled: 1-line block ×3, first 2 shown]
	v_pk_add_f32 v[2:3], v[2:3], v[8:9] neg_lo:[0,1] neg_hi:[0,1]
	v_mov_b32_e32 v0, v1
	v_mov_b32_e32 v1, v32
	;; [unrolled: 1-line block ×4, first 2 shown]
	v_pk_add_f32 v[0:1], v[0:1], v[8:9] neg_lo:[0,1] neg_hi:[0,1]
	v_pk_mul_f32 v[8:9], v[4:5], v[28:29] op_sel:[0,1]
	v_mov_b32_e32 v27, v11
	v_pk_fma_f32 v[10:11], v[4:5], v[28:29], v[8:9] op_sel:[0,0,1] op_sel_hi:[1,1,0]
	v_pk_fma_f32 v[4:5], v[4:5], v[28:29], v[8:9] op_sel:[0,0,1] op_sel_hi:[1,0,0] neg_lo:[1,0,0] neg_hi:[1,0,0]
	s_mov_b32 s4, s3
	v_mov_b32_e32 v11, v5
	v_pk_mul_f32 v[4:5], v[14:15], v[24:25] op_sel:[0,1]
	s_mov_b32 s5, s2
	v_pk_fma_f32 v[8:9], v[14:15], v[24:25], v[4:5] op_sel:[0,0,1] op_sel_hi:[1,1,0]
	v_pk_fma_f32 v[4:5], v[14:15], v[24:25], v[4:5] op_sel:[0,0,1] op_sel_hi:[1,0,0] neg_lo:[1,0,0] neg_hi:[1,0,0]
	v_mov_b32_e32 v14, v7
	v_pk_mul_f32 v[14:15], v[30:31], v[14:15] op_sel_hi:[1,0]
	v_mov_b32_e32 v9, v5
	v_pk_fma_f32 v[18:19], v[6:7], v[30:31], v[14:15] op_sel:[0,0,1] op_sel_hi:[1,1,0]
	v_pk_fma_f32 v[6:7], v[6:7], v[30:31], v[14:15] op_sel:[0,0,1] op_sel_hi:[0,1,0] neg_lo:[0,0,1] neg_hi:[0,0,1]
	v_mov_b32_e32 v19, v7
	v_pk_mul_f32 v[6:7], v[12:13], v[22:23] op_sel:[0,1]
	v_pk_add_f32 v[4:5], v[8:9], v[10:11] neg_lo:[0,1] neg_hi:[0,1]
	v_pk_fma_f32 v[14:15], v[12:13], v[22:23], v[6:7] op_sel:[0,0,1] op_sel_hi:[1,1,0]
	v_pk_fma_f32 v[6:7], v[12:13], v[22:23], v[6:7] op_sel:[0,0,1] op_sel_hi:[1,0,0] neg_lo:[1,0,0] neg_hi:[1,0,0]
	v_pk_mul_f32 v[22:23], v[0:1], s[2:3]
	v_mov_b32_e32 v15, v7
	v_pk_add_f32 v[6:7], v[14:15], v[18:19] neg_lo:[0,1] neg_hi:[0,1]
	v_pk_fma_f32 v[22:23], v[2:3], s[4:5], v[22:23]
	v_pk_mul_f32 v[6:7], v[6:7], s[0:1] op_sel_hi:[1,0]
	s_mov_b32 s2, 0x3eaf1d44
	v_pk_add_f32 v[22:23], v[6:7], v[22:23] op_sel:[1,0] op_sel_hi:[0,1]
	v_mov_b32_e32 v31, v1
	v_mov_b32_e32 v1, v3
	s_mov_b32 s10, s3
	s_mov_b32 s12, 0xbf248dbb
	v_pk_fma_f32 v[22:23], v[4:5], s[2:3], v[22:23] op_sel:[1,0,0] op_sel_hi:[0,0,1]
	v_mov_b32_e32 v30, v2
	v_pk_mul_f32 v[2:3], v[4:5], s[12:13] op_sel:[1,0] op_sel_hi:[0,0]
	v_pk_add_f32 v[58:59], v[0:1], v[4:5] op_sel:[0,1] op_sel_hi:[1,0]
	v_pk_mul_f32 v[4:5], v[4:5], s[10:11] op_sel:[1,0] op_sel_hi:[0,0]
	v_pk_fma_f32 v[4:5], v[30:31], s[12:13], v[4:5] op_sel_hi:[1,0,1] neg_lo:[0,0,1] neg_hi:[0,0,1]
	v_pk_add_f32 v[12:13], v[8:9], v[10:11]
	v_pk_add_f32 v[20:21], v[32:33], v[54:55]
	;; [unrolled: 1-line block ×4, first 2 shown]
	s_mov_b32 s6, 0x3f441b7d
	v_pk_add_f32 v[4:5], v[6:7], v[4:5] op_sel:[1,0] op_sel_hi:[0,1]
	s_mov_b32 s4, 0x3e31d0d4
	v_pk_fma_f32 v[24:25], v[18:19], s[6:7], v[36:37] op_sel_hi:[1,0,1]
	v_pk_fma_f32 v[2:3], v[0:1], s[10:11], v[2:3] op_sel_hi:[1,0,1]
	;; [unrolled: 1-line block ×7, first 2 shown]
	v_pk_add_f32 v[56:57], v[18:19], v[20:21]
	v_pk_fma_f32 v[4:5], v[12:13], s[4:5], v[4:5] op_sel_hi:[1,0,1]
	v_pk_fma_f32 v[24:25], v[14:15], 0.5, v[24:25] op_sel_hi:[1,0,1] neg_lo:[1,0,0] neg_hi:[1,0,0]
	s_mov_b32 s8, 0x3f708fb2
	v_pk_add_f32 v[2:3], v[2:3], v[6:7] op_sel:[0,1] op_sel_hi:[1,0] neg_lo:[0,1] neg_hi:[0,1]
	v_pk_fma_f32 v[32:33], v[14:15], 0.5, v[32:33] op_sel_hi:[1,0,1] neg_lo:[1,0,0] neg_hi:[1,0,0]
	v_pk_add_f32 v[62:63], v[14:15], v[36:37]
	v_pk_add_f32 v[64:65], v[56:57], v[12:13]
	v_pk_fma_f32 v[4:5], v[14:15], 0.5, v[4:5] op_sel_hi:[1,0,1] neg_lo:[1,0,0] neg_hi:[1,0,0]
	v_pk_fma_f32 v[24:25], v[12:13], s[8:9], v[24:25] op_sel_hi:[1,0,1] neg_lo:[1,0,0] neg_hi:[1,0,0]
	v_pk_fma_f32 v[2:3], v[30:31], s[2:3], v[2:3] op_sel_hi:[1,0,1]
	v_pk_fma_f32 v[32:33], v[20:21], s[8:9], v[32:33] op_sel_hi:[1,0,1] neg_lo:[1,0,0] neg_hi:[1,0,0]
	v_pk_add_f32 v[58:59], v[58:59], v[30:31] neg_lo:[0,1] neg_hi:[0,1]
	v_pk_fma_f32 v[62:63], v[64:65], 0.5, v[62:63] op_sel_hi:[1,0,1] neg_lo:[1,0,0] neg_hi:[1,0,0]
	v_pk_fma_f32 v[4:5], v[18:19], s[8:9], v[4:5] op_sel_hi:[1,0,1] neg_lo:[1,0,0] neg_hi:[1,0,0]
	v_pk_add_f32 v[14:15], v[14:15], v[56:57]
	v_pk_add_f32 v[26:27], v[24:25], v[22:23] neg_lo:[0,1] neg_hi:[0,1]
	v_pk_add_f32 v[24:25], v[24:25], v[22:23]
	v_pk_add_f32 v[34:35], v[32:33], v[2:3] neg_lo:[0,1] neg_hi:[0,1]
	v_pk_add_f32 v[32:33], v[32:33], v[2:3]
	v_pk_mul_f32 v[60:61], v[58:59], s[0:1] op_sel_hi:[1,0]
	v_pk_fma_f32 v[64:65], v[58:59], s[0:1], v[62:63] op_sel_hi:[1,0,1] neg_lo:[1,0,0] neg_hi:[1,0,0]
	v_pk_fma_f32 v[58:59], v[58:59], s[0:1], v[62:63] op_sel_hi:[1,0,1]
	v_pk_add_f32 v[6:7], v[4:5], v[0:1] neg_lo:[0,1] neg_hi:[0,1]
	v_pk_add_f32 v[4:5], v[4:5], v[0:1]
	v_pk_add_f32 v[8:9], v[14:15], v[8:9]
	v_pk_fma_f32 v[28:29], v[22:23], 2.0, v[26:27] op_sel_hi:[1,0,1]
	v_pk_fma_f32 v[22:23], v[22:23], 2.0, v[24:25] op_sel_hi:[1,0,1] neg_lo:[1,0,0] neg_hi:[1,0,0]
	v_pk_fma_f32 v[54:55], v[2:3], 2.0, v[34:35] op_sel_hi:[1,0,1]
	v_pk_fma_f32 v[2:3], v[2:3], 2.0, v[32:33] op_sel_hi:[1,0,1] neg_lo:[1,0,0] neg_hi:[1,0,0]
	;; [unrolled: 2-line block ×4, first 2 shown]
	v_pk_add_f32 v[8:9], v[8:9], v[10:11]
	v_mov_b32_e32 v27, v25
	v_pk_add_f32 v[8:9], v[36:37], v[8:9]
	v_mov_b32_e32 v35, v33
	v_mov_b32_e32 v65, v59
	;; [unrolled: 1-line block ×7, first 2 shown]
	global_store_dwordx2 v[38:39], v[8:9], off
	global_store_dwordx2 v[40:41], v[26:27], off
	;; [unrolled: 1-line block ×9, first 2 shown]
.LBB0_20:
	s_endpgm
	.section	.rodata,"a",@progbits
	.p2align	6, 0x0
	.amdhsa_kernel fft_rtc_back_len198_factors_11_2_9_wgs_110_tpt_22_sp_op_CI_CI_sbrr_dirReg
		.amdhsa_group_segment_fixed_size 0
		.amdhsa_private_segment_fixed_size 0
		.amdhsa_kernarg_size 104
		.amdhsa_user_sgpr_count 2
		.amdhsa_user_sgpr_dispatch_ptr 0
		.amdhsa_user_sgpr_queue_ptr 0
		.amdhsa_user_sgpr_kernarg_segment_ptr 1
		.amdhsa_user_sgpr_dispatch_id 0
		.amdhsa_user_sgpr_kernarg_preload_length 0
		.amdhsa_user_sgpr_kernarg_preload_offset 0
		.amdhsa_user_sgpr_private_segment_size 0
		.amdhsa_uses_dynamic_stack 0
		.amdhsa_enable_private_segment 0
		.amdhsa_system_sgpr_workgroup_id_x 1
		.amdhsa_system_sgpr_workgroup_id_y 0
		.amdhsa_system_sgpr_workgroup_id_z 0
		.amdhsa_system_sgpr_workgroup_info 0
		.amdhsa_system_vgpr_workitem_id 0
		.amdhsa_next_free_vgpr 98
		.amdhsa_next_free_sgpr 38
		.amdhsa_accum_offset 100
		.amdhsa_reserve_vcc 1
		.amdhsa_float_round_mode_32 0
		.amdhsa_float_round_mode_16_64 0
		.amdhsa_float_denorm_mode_32 3
		.amdhsa_float_denorm_mode_16_64 3
		.amdhsa_dx10_clamp 1
		.amdhsa_ieee_mode 1
		.amdhsa_fp16_overflow 0
		.amdhsa_tg_split 0
		.amdhsa_exception_fp_ieee_invalid_op 0
		.amdhsa_exception_fp_denorm_src 0
		.amdhsa_exception_fp_ieee_div_zero 0
		.amdhsa_exception_fp_ieee_overflow 0
		.amdhsa_exception_fp_ieee_underflow 0
		.amdhsa_exception_fp_ieee_inexact 0
		.amdhsa_exception_int_div_zero 0
	.end_amdhsa_kernel
	.text
.Lfunc_end0:
	.size	fft_rtc_back_len198_factors_11_2_9_wgs_110_tpt_22_sp_op_CI_CI_sbrr_dirReg, .Lfunc_end0-fft_rtc_back_len198_factors_11_2_9_wgs_110_tpt_22_sp_op_CI_CI_sbrr_dirReg
                                        ; -- End function
	.section	.AMDGPU.csdata,"",@progbits
; Kernel info:
; codeLenInByte = 5832
; NumSgprs: 44
; NumVgprs: 98
; NumAgprs: 0
; TotalNumVgprs: 98
; ScratchSize: 0
; MemoryBound: 0
; FloatMode: 240
; IeeeMode: 1
; LDSByteSize: 0 bytes/workgroup (compile time only)
; SGPRBlocks: 5
; VGPRBlocks: 12
; NumSGPRsForWavesPerEU: 44
; NumVGPRsForWavesPerEU: 98
; AccumOffset: 100
; Occupancy: 4
; WaveLimiterHint : 1
; COMPUTE_PGM_RSRC2:SCRATCH_EN: 0
; COMPUTE_PGM_RSRC2:USER_SGPR: 2
; COMPUTE_PGM_RSRC2:TRAP_HANDLER: 0
; COMPUTE_PGM_RSRC2:TGID_X_EN: 1
; COMPUTE_PGM_RSRC2:TGID_Y_EN: 0
; COMPUTE_PGM_RSRC2:TGID_Z_EN: 0
; COMPUTE_PGM_RSRC2:TIDIG_COMP_CNT: 0
; COMPUTE_PGM_RSRC3_GFX90A:ACCUM_OFFSET: 24
; COMPUTE_PGM_RSRC3_GFX90A:TG_SPLIT: 0
	.text
	.p2alignl 6, 3212836864
	.fill 256, 4, 3212836864
	.type	__hip_cuid_74aaa9c9f968f837,@object ; @__hip_cuid_74aaa9c9f968f837
	.section	.bss,"aw",@nobits
	.globl	__hip_cuid_74aaa9c9f968f837
__hip_cuid_74aaa9c9f968f837:
	.byte	0                               ; 0x0
	.size	__hip_cuid_74aaa9c9f968f837, 1

	.ident	"AMD clang version 19.0.0git (https://github.com/RadeonOpenCompute/llvm-project roc-6.4.0 25133 c7fe45cf4b819c5991fe208aaa96edf142730f1d)"
	.section	".note.GNU-stack","",@progbits
	.addrsig
	.addrsig_sym __hip_cuid_74aaa9c9f968f837
	.amdgpu_metadata
---
amdhsa.kernels:
  - .agpr_count:     0
    .args:
      - .actual_access:  read_only
        .address_space:  global
        .offset:         0
        .size:           8
        .value_kind:     global_buffer
      - .offset:         8
        .size:           8
        .value_kind:     by_value
      - .actual_access:  read_only
        .address_space:  global
        .offset:         16
        .size:           8
        .value_kind:     global_buffer
      - .actual_access:  read_only
        .address_space:  global
        .offset:         24
        .size:           8
        .value_kind:     global_buffer
      - .actual_access:  read_only
        .address_space:  global
        .offset:         32
        .size:           8
        .value_kind:     global_buffer
      - .offset:         40
        .size:           8
        .value_kind:     by_value
      - .actual_access:  read_only
        .address_space:  global
        .offset:         48
        .size:           8
        .value_kind:     global_buffer
      - .actual_access:  read_only
        .address_space:  global
        .offset:         56
        .size:           8
        .value_kind:     global_buffer
      - .offset:         64
        .size:           4
        .value_kind:     by_value
      - .actual_access:  read_only
        .address_space:  global
        .offset:         72
        .size:           8
        .value_kind:     global_buffer
      - .actual_access:  read_only
        .address_space:  global
        .offset:         80
        .size:           8
        .value_kind:     global_buffer
      - .actual_access:  read_only
        .address_space:  global
        .offset:         88
        .size:           8
        .value_kind:     global_buffer
      - .actual_access:  write_only
        .address_space:  global
        .offset:         96
        .size:           8
        .value_kind:     global_buffer
    .group_segment_fixed_size: 0
    .kernarg_segment_align: 8
    .kernarg_segment_size: 104
    .language:       OpenCL C
    .language_version:
      - 2
      - 0
    .max_flat_workgroup_size: 110
    .name:           fft_rtc_back_len198_factors_11_2_9_wgs_110_tpt_22_sp_op_CI_CI_sbrr_dirReg
    .private_segment_fixed_size: 0
    .sgpr_count:     44
    .sgpr_spill_count: 0
    .symbol:         fft_rtc_back_len198_factors_11_2_9_wgs_110_tpt_22_sp_op_CI_CI_sbrr_dirReg.kd
    .uniform_work_group_size: 1
    .uses_dynamic_stack: false
    .vgpr_count:     98
    .vgpr_spill_count: 0
    .wavefront_size: 64
amdhsa.target:   amdgcn-amd-amdhsa--gfx950
amdhsa.version:
  - 1
  - 2
...

	.end_amdgpu_metadata
